;; amdgpu-corpus repo=ROCm/rocFFT kind=compiled arch=gfx1030 opt=O3
	.text
	.amdgcn_target "amdgcn-amd-amdhsa--gfx1030"
	.amdhsa_code_object_version 6
	.protected	fft_rtc_fwd_len1001_factors_13_7_11_wgs_182_tpt_91_halfLds_dp_op_CI_CI_unitstride_sbrr_dirReg ; -- Begin function fft_rtc_fwd_len1001_factors_13_7_11_wgs_182_tpt_91_halfLds_dp_op_CI_CI_unitstride_sbrr_dirReg
	.globl	fft_rtc_fwd_len1001_factors_13_7_11_wgs_182_tpt_91_halfLds_dp_op_CI_CI_unitstride_sbrr_dirReg
	.p2align	8
	.type	fft_rtc_fwd_len1001_factors_13_7_11_wgs_182_tpt_91_halfLds_dp_op_CI_CI_unitstride_sbrr_dirReg,@function
fft_rtc_fwd_len1001_factors_13_7_11_wgs_182_tpt_91_halfLds_dp_op_CI_CI_unitstride_sbrr_dirReg: ; @fft_rtc_fwd_len1001_factors_13_7_11_wgs_182_tpt_91_halfLds_dp_op_CI_CI_unitstride_sbrr_dirReg
; %bb.0:
	s_clause 0x2
	s_load_dwordx4 s[12:15], s[4:5], 0x0
	s_load_dwordx4 s[8:11], s[4:5], 0x58
	;; [unrolled: 1-line block ×3, first 2 shown]
	v_mul_u32_u24_e32 v1, 0x2d1, v0
	v_mov_b32_e32 v28, 0
	v_mov_b32_e32 v29, 0
	v_lshrrev_b32_e32 v154, 16, v1
	v_mov_b32_e32 v1, 0
	v_lshl_add_u32 v3, s6, 1, v154
	v_mov_b32_e32 v4, v1
	s_waitcnt lgkmcnt(0)
	v_cmp_lt_u64_e64 s0, s[14:15], 2
	s_and_b32 vcc_lo, exec_lo, s0
	s_cbranch_vccnz .LBB0_8
; %bb.1:
	s_load_dwordx2 s[0:1], s[4:5], 0x10
	v_mov_b32_e32 v28, 0
	v_mov_b32_e32 v29, 0
	s_add_u32 s2, s18, 8
	s_addc_u32 s3, s19, 0
	s_add_u32 s6, s16, 8
	s_addc_u32 s7, s17, 0
	v_mov_b32_e32 v69, v29
	v_mov_b32_e32 v68, v28
	s_mov_b64 s[22:23], 1
	s_waitcnt lgkmcnt(0)
	s_add_u32 s20, s0, 8
	s_addc_u32 s21, s1, 0
.LBB0_2:                                ; =>This Inner Loop Header: Depth=1
	s_load_dwordx2 s[24:25], s[20:21], 0x0
                                        ; implicit-def: $vgpr71_vgpr72
	s_mov_b32 s0, exec_lo
	s_waitcnt lgkmcnt(0)
	v_or_b32_e32 v2, s25, v4
	v_cmpx_ne_u64_e32 0, v[1:2]
	s_xor_b32 s1, exec_lo, s0
	s_cbranch_execz .LBB0_4
; %bb.3:                                ;   in Loop: Header=BB0_2 Depth=1
	v_cvt_f32_u32_e32 v2, s24
	v_cvt_f32_u32_e32 v5, s25
	s_sub_u32 s0, 0, s24
	s_subb_u32 s26, 0, s25
	v_fmac_f32_e32 v2, 0x4f800000, v5
	v_rcp_f32_e32 v2, v2
	v_mul_f32_e32 v2, 0x5f7ffffc, v2
	v_mul_f32_e32 v5, 0x2f800000, v2
	v_trunc_f32_e32 v5, v5
	v_fmac_f32_e32 v2, 0xcf800000, v5
	v_cvt_u32_f32_e32 v5, v5
	v_cvt_u32_f32_e32 v2, v2
	v_mul_lo_u32 v6, s0, v5
	v_mul_hi_u32 v7, s0, v2
	v_mul_lo_u32 v8, s26, v2
	v_add_nc_u32_e32 v6, v7, v6
	v_mul_lo_u32 v7, s0, v2
	v_add_nc_u32_e32 v6, v6, v8
	v_mul_hi_u32 v8, v2, v7
	v_mul_lo_u32 v9, v2, v6
	v_mul_hi_u32 v10, v2, v6
	v_mul_hi_u32 v11, v5, v7
	v_mul_lo_u32 v7, v5, v7
	v_mul_hi_u32 v12, v5, v6
	v_mul_lo_u32 v6, v5, v6
	v_add_co_u32 v8, vcc_lo, v8, v9
	v_add_co_ci_u32_e32 v9, vcc_lo, 0, v10, vcc_lo
	v_add_co_u32 v7, vcc_lo, v8, v7
	v_add_co_ci_u32_e32 v7, vcc_lo, v9, v11, vcc_lo
	v_add_co_ci_u32_e32 v8, vcc_lo, 0, v12, vcc_lo
	v_add_co_u32 v6, vcc_lo, v7, v6
	v_add_co_ci_u32_e32 v7, vcc_lo, 0, v8, vcc_lo
	v_add_co_u32 v2, vcc_lo, v2, v6
	v_add_co_ci_u32_e32 v5, vcc_lo, v5, v7, vcc_lo
	v_mul_hi_u32 v6, s0, v2
	v_mul_lo_u32 v8, s26, v2
	v_mul_lo_u32 v7, s0, v5
	v_add_nc_u32_e32 v6, v6, v7
	v_mul_lo_u32 v7, s0, v2
	v_add_nc_u32_e32 v6, v6, v8
	v_mul_hi_u32 v8, v2, v7
	v_mul_lo_u32 v9, v2, v6
	v_mul_hi_u32 v10, v2, v6
	v_mul_hi_u32 v11, v5, v7
	v_mul_lo_u32 v7, v5, v7
	v_mul_hi_u32 v12, v5, v6
	v_mul_lo_u32 v6, v5, v6
	v_add_co_u32 v8, vcc_lo, v8, v9
	v_add_co_ci_u32_e32 v9, vcc_lo, 0, v10, vcc_lo
	v_add_co_u32 v7, vcc_lo, v8, v7
	v_add_co_ci_u32_e32 v7, vcc_lo, v9, v11, vcc_lo
	v_add_co_ci_u32_e32 v8, vcc_lo, 0, v12, vcc_lo
	v_add_co_u32 v6, vcc_lo, v7, v6
	v_add_co_ci_u32_e32 v7, vcc_lo, 0, v8, vcc_lo
	v_add_co_u32 v2, vcc_lo, v2, v6
	v_add_co_ci_u32_e32 v9, vcc_lo, v5, v7, vcc_lo
	v_mul_hi_u32 v11, v3, v2
	v_mad_u64_u32 v[7:8], null, v4, v2, 0
	v_mad_u64_u32 v[5:6], null, v3, v9, 0
	v_mad_u64_u32 v[9:10], null, v4, v9, 0
	v_add_co_u32 v2, vcc_lo, v11, v5
	v_add_co_ci_u32_e32 v5, vcc_lo, 0, v6, vcc_lo
	v_add_co_u32 v2, vcc_lo, v2, v7
	v_add_co_ci_u32_e32 v2, vcc_lo, v5, v8, vcc_lo
	v_add_co_ci_u32_e32 v5, vcc_lo, 0, v10, vcc_lo
	v_add_co_u32 v2, vcc_lo, v2, v9
	v_add_co_ci_u32_e32 v7, vcc_lo, 0, v5, vcc_lo
	v_mul_lo_u32 v8, s25, v2
	v_mad_u64_u32 v[5:6], null, s24, v2, 0
	v_mul_lo_u32 v9, s24, v7
	v_sub_co_u32 v5, vcc_lo, v3, v5
	v_add3_u32 v6, v6, v9, v8
	v_sub_nc_u32_e32 v8, v4, v6
	v_subrev_co_ci_u32_e64 v8, s0, s25, v8, vcc_lo
	v_add_co_u32 v9, s0, v2, 2
	v_add_co_ci_u32_e64 v10, s0, 0, v7, s0
	v_sub_co_u32 v11, s0, v5, s24
	v_sub_co_ci_u32_e32 v6, vcc_lo, v4, v6, vcc_lo
	v_subrev_co_ci_u32_e64 v8, s0, 0, v8, s0
	v_cmp_le_u32_e32 vcc_lo, s24, v11
	v_cmp_eq_u32_e64 s0, s25, v6
	v_cndmask_b32_e64 v11, 0, -1, vcc_lo
	v_cmp_le_u32_e32 vcc_lo, s25, v8
	v_cndmask_b32_e64 v12, 0, -1, vcc_lo
	v_cmp_le_u32_e32 vcc_lo, s24, v5
	;; [unrolled: 2-line block ×3, first 2 shown]
	v_cndmask_b32_e64 v13, 0, -1, vcc_lo
	v_cmp_eq_u32_e32 vcc_lo, s25, v8
	v_cndmask_b32_e64 v5, v13, v5, s0
	v_cndmask_b32_e32 v8, v12, v11, vcc_lo
	v_add_co_u32 v11, vcc_lo, v2, 1
	v_add_co_ci_u32_e32 v12, vcc_lo, 0, v7, vcc_lo
	v_cmp_ne_u32_e32 vcc_lo, 0, v8
	v_cndmask_b32_e32 v6, v12, v10, vcc_lo
	v_cndmask_b32_e32 v8, v11, v9, vcc_lo
	v_cmp_ne_u32_e32 vcc_lo, 0, v5
	v_cndmask_b32_e32 v72, v7, v6, vcc_lo
	v_cndmask_b32_e32 v71, v2, v8, vcc_lo
.LBB0_4:                                ;   in Loop: Header=BB0_2 Depth=1
	s_andn2_saveexec_b32 s0, s1
	s_cbranch_execz .LBB0_6
; %bb.5:                                ;   in Loop: Header=BB0_2 Depth=1
	v_cvt_f32_u32_e32 v2, s24
	s_sub_i32 s1, 0, s24
	v_mov_b32_e32 v72, v1
	v_rcp_iflag_f32_e32 v2, v2
	v_mul_f32_e32 v2, 0x4f7ffffe, v2
	v_cvt_u32_f32_e32 v2, v2
	v_mul_lo_u32 v5, s1, v2
	v_mul_hi_u32 v5, v2, v5
	v_add_nc_u32_e32 v2, v2, v5
	v_mul_hi_u32 v2, v3, v2
	v_mul_lo_u32 v5, v2, s24
	v_add_nc_u32_e32 v6, 1, v2
	v_sub_nc_u32_e32 v5, v3, v5
	v_subrev_nc_u32_e32 v7, s24, v5
	v_cmp_le_u32_e32 vcc_lo, s24, v5
	v_cndmask_b32_e32 v5, v5, v7, vcc_lo
	v_cndmask_b32_e32 v2, v2, v6, vcc_lo
	v_cmp_le_u32_e32 vcc_lo, s24, v5
	v_add_nc_u32_e32 v6, 1, v2
	v_cndmask_b32_e32 v71, v2, v6, vcc_lo
.LBB0_6:                                ;   in Loop: Header=BB0_2 Depth=1
	s_or_b32 exec_lo, exec_lo, s0
	v_mul_lo_u32 v2, v72, s24
	v_mul_lo_u32 v7, v71, s25
	s_load_dwordx2 s[0:1], s[6:7], 0x0
	v_mad_u64_u32 v[5:6], null, v71, s24, 0
	s_load_dwordx2 s[24:25], s[2:3], 0x0
	s_add_u32 s22, s22, 1
	s_addc_u32 s23, s23, 0
	s_add_u32 s2, s2, 8
	s_addc_u32 s3, s3, 0
	s_add_u32 s6, s6, 8
	v_add3_u32 v2, v6, v7, v2
	v_sub_co_u32 v3, vcc_lo, v3, v5
	s_addc_u32 s7, s7, 0
	s_add_u32 s20, s20, 8
	v_sub_co_ci_u32_e32 v2, vcc_lo, v4, v2, vcc_lo
	s_addc_u32 s21, s21, 0
	s_waitcnt lgkmcnt(0)
	v_mul_lo_u32 v4, s0, v2
	v_mul_lo_u32 v5, s1, v3
	v_mad_u64_u32 v[28:29], null, s0, v3, v[28:29]
	v_mul_lo_u32 v2, s24, v2
	v_mul_lo_u32 v6, s25, v3
	v_mad_u64_u32 v[68:69], null, s24, v3, v[68:69]
	v_cmp_ge_u64_e64 s0, s[22:23], s[14:15]
	v_add3_u32 v29, v5, v29, v4
	v_add3_u32 v69, v6, v69, v2
	s_and_b32 vcc_lo, exec_lo, s0
	s_cbranch_vccnz .LBB0_9
; %bb.7:                                ;   in Loop: Header=BB0_2 Depth=1
	v_mov_b32_e32 v3, v71
	v_mov_b32_e32 v4, v72
	s_branch .LBB0_2
.LBB0_8:
	v_mov_b32_e32 v69, v29
	v_mov_b32_e32 v72, v4
	;; [unrolled: 1-line block ×4, first 2 shown]
.LBB0_9:
	s_load_dwordx2 s[0:1], s[4:5], 0x28
	s_lshl_b64 s[4:5], s[14:15], 3
	v_mul_hi_u32 v1, 0x2d02d03, v0
	s_add_u32 s2, s18, s4
	s_addc_u32 s3, s19, s5
	v_mov_b32_e32 v70, 0
	s_load_dwordx2 s[2:3], s[2:3], 0x0
                                        ; implicit-def: $vgpr6_vgpr7
                                        ; implicit-def: $vgpr10_vgpr11
                                        ; implicit-def: $vgpr18_vgpr19
                                        ; implicit-def: $vgpr22_vgpr23
                                        ; implicit-def: $vgpr26_vgpr27
                                        ; implicit-def: $vgpr34_vgpr35
                                        ; implicit-def: $vgpr38_vgpr39
                                        ; implicit-def: $vgpr42_vgpr43
                                        ; implicit-def: $vgpr54_vgpr55
                                        ; implicit-def: $vgpr50_vgpr51
                                        ; implicit-def: $vgpr46_vgpr47
                                        ; implicit-def: $vgpr14_vgpr15
                                        ; implicit-def: $vgpr2_vgpr3
	v_mul_u32_u24_e32 v1, 0x5b, v1
	v_sub_nc_u32_e32 v73, v0, v1
	s_waitcnt lgkmcnt(0)
	v_cmp_gt_u64_e32 vcc_lo, s[0:1], v[71:72]
	s_and_saveexec_b32 s1, vcc_lo
	s_cbranch_execz .LBB0_13
; %bb.10:
	s_mov_b32 s6, exec_lo
                                        ; implicit-def: $vgpr0_vgpr1
                                        ; implicit-def: $vgpr12_vgpr13
                                        ; implicit-def: $vgpr44_vgpr45
                                        ; implicit-def: $vgpr48_vgpr49
                                        ; implicit-def: $vgpr52_vgpr53
                                        ; implicit-def: $vgpr40_vgpr41
                                        ; implicit-def: $vgpr36_vgpr37
                                        ; implicit-def: $vgpr32_vgpr33
                                        ; implicit-def: $vgpr24_vgpr25
                                        ; implicit-def: $vgpr20_vgpr21
                                        ; implicit-def: $vgpr16_vgpr17
                                        ; implicit-def: $vgpr8_vgpr9
                                        ; implicit-def: $vgpr4_vgpr5
	v_cmpx_gt_u32_e32 0x4d, v73
	s_cbranch_execz .LBB0_12
; %bb.11:
	s_add_u32 s4, s16, s4
	s_addc_u32 s5, s17, s5
	v_mov_b32_e32 v74, 0
	s_load_dwordx2 s[4:5], s[4:5], 0x0
	s_waitcnt lgkmcnt(0)
	v_mul_lo_u32 v2, s5, v71
	v_mul_lo_u32 v3, s4, v72
	v_mad_u64_u32 v[0:1], null, s4, v71, 0
	v_add3_u32 v1, v1, v3, v2
	v_lshlrev_b64 v[2:3], 4, v[28:29]
	v_lshlrev_b64 v[0:1], 4, v[0:1]
	v_add_co_u32 v4, s0, s8, v0
	v_add_co_ci_u32_e64 v5, s0, s9, v1, s0
	v_lshlrev_b64 v[0:1], 4, v[73:74]
	v_add_co_u32 v2, s0, v4, v2
	v_add_co_ci_u32_e64 v3, s0, v5, v3, s0
	v_add_co_u32 v4, s0, v2, v0
	v_add_co_ci_u32_e64 v5, s0, v3, v1, s0
	s_clause 0x1
	global_load_dwordx4 v[0:3], v[4:5], off
	global_load_dwordx4 v[12:15], v[4:5], off offset:1232
	v_add_co_u32 v6, s0, 0x800, v4
	v_add_co_ci_u32_e64 v7, s0, 0, v5, s0
	v_add_co_u32 v8, s0, 0x1000, v4
	v_add_co_ci_u32_e64 v9, s0, 0, v5, s0
	;; [unrolled: 2-line block ×7, first 2 shown]
	s_clause 0xa
	global_load_dwordx4 v[44:47], v[6:7], off offset:416
	global_load_dwordx4 v[48:51], v[6:7], off offset:1648
	;; [unrolled: 1-line block ×11, first 2 shown]
.LBB0_12:
	s_or_b32 exec_lo, exec_lo, s6
	v_mov_b32_e32 v70, v73
.LBB0_13:
	s_or_b32 exec_lo, exec_lo, s1
	s_waitcnt vmcnt(0)
	v_add_f64 v[28:29], v[4:5], v[12:13]
	s_mov_b32 s0, 0xe00740e9
	s_mov_b32 s34, 0x1ea71119
	;; [unrolled: 1-line block ×12, first 2 shown]
	v_add_f64 v[56:57], v[14:15], -v[6:7]
	v_add_f64 v[30:31], v[8:9], v[44:45]
	s_mov_b32 s6, 0x4267c47c
	s_mov_b32 s4, 0x42a4c3d2
	;; [unrolled: 1-line block ×7, first 2 shown]
	v_mul_f64 v[60:61], v[28:29], s[34:35]
	v_mul_f64 v[62:63], v[28:29], s[40:41]
	;; [unrolled: 1-line block ×6, first 2 shown]
	s_mov_b32 s5, 0xbfea55e2
	s_mov_b32 s9, 0xbfedeba7
	;; [unrolled: 1-line block ×5, first 2 shown]
	v_add_f64 v[58:59], v[46:47], -v[10:11]
	v_add_f64 v[74:75], v[16:17], v[48:49]
	s_mov_b32 s25, 0x3fe5384d
	v_mul_f64 v[84:85], v[30:31], s[36:37]
	v_mul_f64 v[86:87], v[30:31], s[38:39]
	;; [unrolled: 1-line block ×6, first 2 shown]
	s_mov_b32 s17, 0x3fefc445
	s_mov_b32 s21, 0x3fddbe06
	v_fma_f64 v[28:29], v[56:57], s[4:5], v[60:61]
	v_fma_f64 v[76:77], v[56:57], s[22:23], v[62:63]
	;; [unrolled: 1-line block ×6, first 2 shown]
	s_mov_b32 s24, s18
	s_mov_b32 s16, s22
	;; [unrolled: 1-line block ×3, first 2 shown]
	v_add_f64 v[98:99], v[50:51], -v[18:19]
	v_add_f64 v[124:125], v[20:21], v[52:53]
	s_mov_b32 s27, 0x3fedeba7
	v_mul_f64 v[96:97], v[74:75], s[38:39]
	v_mul_f64 v[100:101], v[74:75], s[36:37]
	v_mul_f64 v[102:103], v[74:75], s[0:1]
	v_mul_f64 v[104:105], v[74:75], s[34:35]
	v_mul_f64 v[106:107], v[74:75], s[42:43]
	v_fma_f64 v[122:123], v[58:59], s[8:9], v[84:85]
	v_fma_f64 v[126:127], v[58:59], s[14:15], v[86:87]
	;; [unrolled: 1-line block ×5, first 2 shown]
	v_add_f64 v[28:29], v[0:1], v[28:29]
	v_add_f64 v[76:77], v[0:1], v[76:77]
	;; [unrolled: 1-line block ×5, first 2 shown]
	v_mul_f64 v[120:121], v[74:75], s[40:41]
	v_fma_f64 v[74:75], v[58:59], s[4:5], v[108:109]
	v_add_f64 v[30:31], v[0:1], v[30:31]
	s_mov_b32 s26, s8
	v_add_f64 v[110:111], v[54:55], -v[22:23]
	v_add_f64 v[136:137], v[24:25], v[40:41]
	v_mul_f64 v[112:113], v[124:125], s[36:37]
	v_mul_f64 v[114:115], v[124:125], s[42:43]
	;; [unrolled: 1-line block ×4, first 2 shown]
	v_fma_f64 v[138:139], v[98:99], s[14:15], v[96:97]
	v_fma_f64 v[140:141], v[98:99], s[26:27], v[100:101]
	;; [unrolled: 1-line block ×5, first 2 shown]
	s_mov_b32 s29, 0x3fcea1e5
	s_mov_b32 s28, s14
	v_add_f64 v[28:29], v[122:123], v[28:29]
	v_add_f64 v[76:77], v[126:127], v[76:77]
	;; [unrolled: 1-line block ×5, first 2 shown]
	v_mul_f64 v[122:123], v[124:125], s[38:39]
	v_mul_f64 v[128:129], v[124:125], s[34:35]
	v_fma_f64 v[150:151], v[98:99], s[22:23], v[120:121]
	v_add_f64 v[30:31], v[74:75], v[30:31]
	s_mov_b32 s31, 0x3fea55e2
	s_mov_b32 s30, s4
	v_add_f64 v[126:127], v[42:43], -v[26:27]
	v_add_f64 v[74:75], v[32:33], v[36:37]
	v_mul_f64 v[124:125], v[136:137], s[42:43]
	v_mul_f64 v[130:131], v[136:137], s[40:41]
	;; [unrolled: 1-line block ×4, first 2 shown]
	v_fma_f64 v[155:156], v[110:111], s[8:9], v[112:113]
	v_fma_f64 v[157:158], v[110:111], s[24:25], v[114:115]
	;; [unrolled: 1-line block ×4, first 2 shown]
	v_and_b32_e32 v154, 1, v154
	v_add_f64 v[28:29], v[138:139], v[28:29]
	v_add_f64 v[76:77], v[140:141], v[76:77]
	;; [unrolled: 1-line block ×5, first 2 shown]
	v_mul_f64 v[138:139], v[136:137], s[0:1]
	v_mul_f64 v[142:143], v[136:137], s[36:37]
	v_fma_f64 v[165:166], v[110:111], s[28:29], v[122:123]
	v_fma_f64 v[167:168], v[110:111], s[30:31], v[128:129]
	v_add_f64 v[30:31], v[150:151], v[30:31]
	v_add_f64 v[148:149], v[38:39], -v[34:35]
	v_mul_f64 v[136:137], v[74:75], s[0:1]
	v_mul_f64 v[140:141], v[74:75], s[42:43]
	;; [unrolled: 1-line block ×6, first 2 shown]
	v_fma_f64 v[74:75], v[126:127], s[18:19], v[124:125]
	v_fma_f64 v[169:170], v[126:127], s[16:17], v[130:131]
	;; [unrolled: 1-line block ×4, first 2 shown]
	v_add_f64 v[28:29], v[157:158], v[28:29]
	v_add_f64 v[76:77], v[159:160], v[76:77]
	;; [unrolled: 1-line block ×3, first 2 shown]
	v_cmp_eq_u32_e64 s0, 1, v154
	v_cmp_gt_u32_e64 s1, 0x4d, v73
	v_fma_f64 v[175:176], v[126:127], s[20:21], v[138:139]
	v_fma_f64 v[177:178], v[126:127], s[8:9], v[142:143]
	v_add_f64 v[80:81], v[165:166], v[80:81]
	v_add_f64 v[157:158], v[167:168], v[163:164]
	;; [unrolled: 1-line block ×3, first 2 shown]
	v_cndmask_b32_e64 v154, 0, 0x3e9, s0
	v_fma_f64 v[155:156], v[148:149], s[20:21], v[136:137]
	v_fma_f64 v[159:160], v[148:149], s[18:19], v[140:141]
	;; [unrolled: 1-line block ×6, first 2 shown]
	v_add_f64 v[28:29], v[169:170], v[28:29]
	v_add_f64 v[76:77], v[171:172], v[76:77]
	;; [unrolled: 1-line block ×12, first 2 shown]
	v_lshlrev_b32_e32 v157, 3, v154
	s_and_saveexec_b32 s0, s1
	s_cbranch_execz .LBB0_15
; %bb.14:
	v_add_f64 v[154:155], v[12:13], v[0:1]
	v_mul_f64 v[162:163], v[56:57], s[22:23]
	v_mul_f64 v[164:165], v[56:57], s[4:5]
	;; [unrolled: 1-line block ×12, first 2 shown]
	v_add_f64 v[154:155], v[44:45], v[154:155]
	v_add_f64 v[62:63], v[62:63], -v[162:163]
	v_add_f64 v[60:61], v[60:61], -v[164:165]
	;; [unrolled: 1-line block ×6, first 2 shown]
	v_mul_f64 v[162:163], v[98:99], s[26:27]
	v_mul_f64 v[164:165], v[98:99], s[14:15]
	v_add_f64 v[86:87], v[86:87], -v[174:175]
	v_add_f64 v[84:85], v[84:85], -v[176:177]
	v_mul_f64 v[158:159], v[98:99], s[4:5]
	v_mul_f64 v[160:161], v[98:99], s[20:21]
	v_add_f64 v[90:91], v[90:91], -v[170:171]
	v_add_f64 v[88:89], v[88:89], -v[172:173]
	;; [unrolled: 1-line block ×4, first 2 shown]
	v_mul_f64 v[170:171], v[110:111], s[24:25]
	v_mul_f64 v[166:167], v[110:111], s[28:29]
	;; [unrolled: 1-line block ×4, first 2 shown]
	v_add_f64 v[154:155], v[48:49], v[154:155]
	v_add_f64 v[62:63], v[0:1], v[62:63]
	;; [unrolled: 1-line block ×7, first 2 shown]
	v_add_f64 v[100:101], v[100:101], -v[162:163]
	v_add_f64 v[96:97], v[96:97], -v[164:165]
	;; [unrolled: 1-line block ×7, first 2 shown]
	v_add_f64 v[154:155], v[52:53], v[154:155]
	v_add_f64 v[62:63], v[86:87], v[62:63]
	;; [unrolled: 1-line block ×7, first 2 shown]
	v_mul_f64 v[84:85], v[126:127], s[16:17]
	v_mul_f64 v[86:87], v[126:127], s[4:5]
	;; [unrolled: 1-line block ×6, first 2 shown]
	v_add_f64 v[154:155], v[40:41], v[154:155]
	v_add_f64 v[62:63], v[100:101], v[62:63]
	;; [unrolled: 1-line block ×5, first 2 shown]
	v_mul_f64 v[100:101], v[148:149], s[18:19]
	v_mul_f64 v[102:103], v[148:149], s[30:31]
	v_add_f64 v[84:85], v[130:131], -v[84:85]
	v_add_f64 v[86:87], v[132:133], -v[86:87]
	v_mul_f64 v[104:105], v[148:149], s[8:9]
	v_add_f64 v[90:91], v[138:139], -v[90:91]
	v_add_f64 v[88:89], v[134:135], -v[88:89]
	;; [unrolled: 1-line block ×3, first 2 shown]
	v_mul_f64 v[96:97], v[148:149], s[14:15]
	v_add_f64 v[58:59], v[124:125], -v[58:59]
	v_add_f64 v[94:95], v[36:37], v[154:155]
	v_mul_f64 v[154:155], v[98:99], s[18:19]
	v_mul_f64 v[98:99], v[98:99], s[22:23]
	v_add_f64 v[60:61], v[114:115], v[60:61]
	v_add_f64 v[64:65], v[118:119], v[64:65]
	v_add_f64 v[100:101], v[140:141], -v[100:101]
	v_add_f64 v[102:103], v[144:145], -v[102:103]
	;; [unrolled: 1-line block ×4, first 2 shown]
	v_add_f64 v[56:57], v[32:33], v[94:95]
	v_mul_f64 v[94:95], v[110:111], s[20:21]
	v_add_f64 v[106:107], v[106:107], -v[154:155]
	v_mul_f64 v[110:111], v[110:111], s[8:9]
	v_add_f64 v[98:99], v[120:121], -v[98:99]
	v_add_f64 v[120:121], v[122:123], -v[166:167]
	v_add_f64 v[60:61], v[84:85], v[60:61]
	v_add_f64 v[64:65], v[88:89], v[64:65]
	;; [unrolled: 1-line block ×3, first 2 shown]
	v_add_f64 v[94:95], v[116:117], -v[94:95]
	v_add_f64 v[82:83], v[106:107], v[82:83]
	v_add_f64 v[110:111], v[112:113], -v[110:111]
	v_add_f64 v[0:1], v[98:99], v[0:1]
	v_mul_f64 v[98:99], v[148:149], s[20:21]
	v_add_f64 v[66:67], v[120:121], v[66:67]
	v_mul_f64 v[106:107], v[148:149], s[16:17]
	v_add_f64 v[64:65], v[102:103], v[64:65]
	v_add_f64 v[56:57], v[20:21], v[56:57]
	;; [unrolled: 1-line block ×5, first 2 shown]
	v_add_f64 v[98:99], v[136:137], -v[98:99]
	v_add_f64 v[66:67], v[90:91], v[66:67]
	v_add_f64 v[94:95], v[152:153], -v[106:107]
	v_add_f64 v[56:57], v[16:17], v[56:57]
	v_add_f64 v[62:63], v[86:87], v[62:63]
	;; [unrolled: 1-line block ×9, first 2 shown]
	v_mul_u32_u24_e32 v82, 0x68, v73
	v_add_f64 v[0:1], v[96:97], v[0:1]
	v_add3_u32 v82, 0, v82, v157
	v_add_f64 v[56:57], v[4:5], v[56:57]
	ds_write2_b64 v82, v[80:81], v[78:79] offset0:8 offset1:9
	ds_write2_b64 v82, v[76:77], v[74:75] offset0:10 offset1:11
	ds_write2_b64 v82, v[60:61], v[62:63] offset0:2 offset1:3
	ds_write2_b64 v82, v[64:65], v[66:67] offset0:4 offset1:5
	ds_write2_b64 v82, v[58:59], v[28:29] offset0:6 offset1:7
	ds_write2_b64 v82, v[56:57], v[0:1] offset1:1
	ds_write_b64 v82, v[30:31] offset:96
.LBB0_15:
	s_or_b32 exec_lo, exec_lo, s0
	v_lshlrev_b32_e32 v0, 3, v73
	s_waitcnt lgkmcnt(0)
	s_barrier
	buffer_gl0_inv
	v_cmp_gt_u32_e64 s0, 52, v73
	v_add_nc_u32_e32 v159, 0, v0
	v_add3_u32 v156, 0, v157, v0
	v_add_nc_u32_e32 v158, v159, v157
	v_add_nc_u32_e32 v0, 0x400, v158
	;; [unrolled: 1-line block ×4, first 2 shown]
	ds_read_b64 v[82:83], v156
	ds_read2_b64 v[60:63], v0 offset0:15 offset1:158
	ds_read2_b64 v[56:59], v1 offset0:45 offset1:188
	;; [unrolled: 1-line block ×3, first 2 shown]
                                        ; implicit-def: $vgpr0_vgpr1
	s_and_saveexec_b32 s4, s0
	s_cbranch_execz .LBB0_17
; %bb.16:
	v_add_nc_u32_e32 v0, 0xa00, v158
	ds_read2_b64 v[28:31], v84 offset0:23 offset1:166
	ds_read2_b64 v[84:87], v158 offset0:91 offset1:234
	;; [unrolled: 1-line block ×3, first 2 shown]
	ds_read_b64 v[0:1], v158 offset:7592
	s_waitcnt lgkmcnt(3)
	v_mov_b32_e32 v75, v29
	v_mov_b32_e32 v74, v28
	s_waitcnt lgkmcnt(2)
	v_mov_b32_e32 v80, v86
	s_waitcnt lgkmcnt(1)
	v_mov_b32_e32 v76, v90
	v_mov_b32_e32 v78, v88
	;; [unrolled: 1-line block ×7, first 2 shown]
.LBB0_17:
	s_or_b32 exec_lo, exec_lo, s4
	v_add_f64 v[4:5], v[12:13], -v[4:5]
	s_mov_b32 s22, 0x42a4c3d2
	s_mov_b32 s28, 0x66966769
	;; [unrolled: 1-line block ×12, first 2 shown]
	v_add_f64 v[12:13], v[6:7], v[14:15]
	v_add_f64 v[102:103], v[44:45], -v[8:9]
	s_mov_b32 s4, 0xe00740e9
	s_mov_b32 s6, 0x1ea71119
	;; [unrolled: 1-line block ×7, first 2 shown]
	v_mul_f64 v[86:87], v[4:5], s[20:21]
	v_mul_f64 v[84:85], v[4:5], s[22:23]
	;; [unrolled: 1-line block ×6, first 2 shown]
	s_mov_b32 s7, 0x3fe22d96
	s_mov_b32 s9, 0x3fbedb7d
	s_mov_b32 s15, 0xbfd6b1d8
	s_mov_b32 s17, 0xbfe7f3cc
	s_mov_b32 s19, 0xbfef11f4
	s_mov_b32 s37, 0x3fe5384d
	s_mov_b32 s35, 0x3fefc445
	s_mov_b32 s36, s26
	s_mov_b32 s34, s28
	s_mov_b32 s21, 0x3fddbe06
	v_add_f64 v[4:5], v[48:49], -v[16:17]
	v_add_f64 v[48:49], v[10:11], v[46:47]
	v_mul_f64 v[96:97], v[102:103], s[22:23]
	v_mul_f64 v[94:95], v[102:103], s[24:25]
	v_mul_f64 v[92:93], v[102:103], s[30:31]
	v_mul_f64 v[98:99], v[102:103], s[36:37]
	v_fma_f64 v[114:115], v[12:13], s[4:5], -v[86:87]
	v_fma_f64 v[116:117], v[12:13], s[6:7], -v[84:85]
	v_fma_f64 v[118:119], v[12:13], s[8:9], -v[8:9]
	v_mul_f64 v[100:101], v[102:103], s[34:35]
	v_fma_f64 v[120:121], v[12:13], s[14:15], -v[44:45]
	v_fma_f64 v[122:123], v[12:13], s[16:17], -v[88:89]
	v_mul_f64 v[102:103], v[102:103], s[20:21]
	v_fma_f64 v[124:125], v[12:13], s[18:19], -v[90:91]
	s_mov_b32 s39, 0x3fedeba7
	s_mov_b32 s38, s24
	v_add_f64 v[16:17], v[18:19], v[50:51]
	v_add_f64 v[20:21], v[52:53], -v[20:21]
	s_mov_b32 s41, 0x3fcea1e5
	s_mov_b32 s40, s30
	v_add_f64 v[52:53], v[22:23], v[54:55]
	v_add_f64 v[24:25], v[40:41], -v[24:25]
	v_mul_f64 v[108:109], v[4:5], s[28:29]
	v_mul_f64 v[106:107], v[4:5], s[30:31]
	;; [unrolled: 1-line block ×5, first 2 shown]
	v_fma_f64 v[128:129], v[48:49], s[6:7], -v[96:97]
	v_fma_f64 v[134:135], v[48:49], s[14:15], -v[94:95]
	;; [unrolled: 1-line block ×3, first 2 shown]
	v_add_f64 v[138:139], v[2:3], v[114:115]
	v_add_f64 v[140:141], v[2:3], v[116:117]
	;; [unrolled: 1-line block ×3, first 2 shown]
	v_mul_f64 v[114:115], v[4:5], s[20:21]
	v_fma_f64 v[4:5], v[48:49], s[16:17], -v[98:99]
	v_add_f64 v[120:121], v[2:3], v[120:121]
	v_fma_f64 v[144:145], v[48:49], s[8:9], -v[100:101]
	v_add_f64 v[122:123], v[2:3], v[122:123]
	;; [unrolled: 2-line block ×3, first 2 shown]
	s_mov_b32 s39, 0x3fea55e2
	s_mov_b32 s38, s22
	v_mul_f64 v[130:131], v[20:21], s[24:25]
	v_mul_f64 v[126:127], v[20:21], s[36:37]
	;; [unrolled: 1-line block ×5, first 2 shown]
	v_fma_f64 v[40:41], v[16:17], s[8:9], -v[108:109]
	v_fma_f64 v[148:149], v[16:17], s[18:19], -v[106:107]
	;; [unrolled: 1-line block ×5, first 2 shown]
	v_add_f64 v[138:139], v[128:129], v[138:139]
	v_add_f64 v[140:141], v[134:135], v[140:141]
	;; [unrolled: 1-line block ×3, first 2 shown]
	v_mul_f64 v[134:135], v[20:21], s[38:39]
	v_fma_f64 v[20:21], v[16:17], s[4:5], -v[114:115]
	v_add_f64 v[4:5], v[4:5], v[120:121]
	v_add_f64 v[150:151], v[26:27], v[42:43]
	;; [unrolled: 1-line block ×3, first 2 shown]
	v_add_f64 v[32:33], v[36:37], -v[32:33]
	v_add_f64 v[146:147], v[146:147], v[124:125]
	v_mul_f64 v[128:129], v[24:25], s[26:27]
	v_mul_f64 v[124:125], v[24:25], s[34:35]
	;; [unrolled: 1-line block ×5, first 2 shown]
	v_fma_f64 v[36:37], v[52:53], s[14:15], -v[130:131]
	v_fma_f64 v[162:163], v[52:53], s[16:17], -v[126:127]
	v_fma_f64 v[164:165], v[52:53], s[4:5], -v[132:133]
	s_waitcnt lgkmcnt(0)
	s_barrier
	buffer_gl0_inv
	v_add_f64 v[40:41], v[40:41], v[138:139]
	v_add_f64 v[166:167], v[148:149], v[140:141]
	;; [unrolled: 1-line block ×3, first 2 shown]
	v_mul_f64 v[138:139], v[24:25], s[20:21]
	v_fma_f64 v[24:25], v[52:53], s[8:9], -v[118:119]
	v_add_f64 v[4:5], v[20:21], v[4:5]
	v_fma_f64 v[20:21], v[52:53], s[18:19], -v[116:117]
	v_add_f64 v[170:171], v[154:155], v[144:145]
	;; [unrolled: 2-line block ×3, first 2 shown]
	v_add_f64 v[152:153], v[34:35], v[38:39]
	v_mul_f64 v[140:141], v[32:33], s[26:27]
	v_mul_f64 v[148:149], v[32:33], s[30:31]
	;; [unrolled: 1-line block ×6, first 2 shown]
	v_fma_f64 v[32:33], v[150:151], s[16:17], -v[128:129]
	v_fma_f64 v[174:175], v[150:151], s[8:9], -v[124:125]
	;; [unrolled: 1-line block ×5, first 2 shown]
	v_add_f64 v[36:37], v[36:37], v[40:41]
	v_add_f64 v[162:163], v[162:163], v[166:167]
	;; [unrolled: 1-line block ×3, first 2 shown]
	v_fma_f64 v[182:183], v[150:151], s[4:5], -v[138:139]
	v_add_f64 v[4:5], v[24:25], v[4:5]
	v_add_f64 v[20:21], v[20:21], v[170:171]
	;; [unrolled: 1-line block ×3, first 2 shown]
	v_fma_f64 v[40:41], v[152:153], s[16:17], -v[140:141]
	v_fma_f64 v[160:161], v[152:153], s[18:19], -v[148:149]
	;; [unrolled: 1-line block ×6, first 2 shown]
	v_add_f64 v[36:37], v[32:33], v[36:37]
	v_add_f64 v[162:163], v[174:175], v[162:163]
	;; [unrolled: 1-line block ×12, first 2 shown]
	s_and_saveexec_b32 s20, s1
	s_cbranch_execz .LBB0_19
; %bb.18:
	v_add_f64 v[14:15], v[14:15], v[2:3]
	v_mul_f64 v[160:161], v[12:13], s[14:15]
	v_mul_f64 v[162:163], v[12:13], s[16:17]
	;; [unrolled: 1-line block ×6, first 2 shown]
	v_add_f64 v[14:15], v[46:47], v[14:15]
	v_mul_f64 v[46:47], v[12:13], s[4:5]
	v_add_f64 v[44:45], v[160:161], v[44:45]
	v_add_f64 v[94:95], v[164:165], v[94:95]
	;; [unrolled: 1-line block ×3, first 2 shown]
	v_mul_f64 v[160:161], v[52:53], s[18:19]
	v_add_f64 v[14:15], v[50:51], v[14:15]
	v_mul_f64 v[50:51], v[12:13], s[6:7]
	v_add_f64 v[46:47], v[46:47], v[86:87]
	;; [unrolled: 2-line block ×3, first 2 shown]
	v_add_f64 v[14:15], v[54:55], v[14:15]
	v_mul_f64 v[54:55], v[12:13], s[8:9]
	v_mul_f64 v[12:13], v[12:13], s[18:19]
	v_add_f64 v[50:51], v[50:51], v[84:85]
	v_mul_f64 v[84:85], v[16:17], s[18:19]
	v_add_f64 v[46:47], v[2:3], v[46:47]
	v_add_f64 v[86:87], v[86:87], v[104:105]
	;; [unrolled: 1-line block ×3, first 2 shown]
	v_mul_f64 v[42:43], v[48:49], s[6:7]
	v_add_f64 v[8:9], v[54:55], v[8:9]
	v_add_f64 v[54:55], v[162:163], v[88:89]
	v_mul_f64 v[48:49], v[48:49], s[4:5]
	v_add_f64 v[12:13], v[12:13], v[90:91]
	v_add_f64 v[50:51], v[2:3], v[50:51]
	v_mul_f64 v[88:89], v[16:17], s[4:5]
	v_mul_f64 v[90:91], v[16:17], s[6:7]
	v_add_f64 v[84:85], v[84:85], v[106:107]
	v_add_f64 v[14:15], v[38:39], v[14:15]
	v_mul_f64 v[38:39], v[16:17], s[8:9]
	v_add_f64 v[42:43], v[42:43], v[96:97]
	v_add_f64 v[8:9], v[2:3], v[8:9]
	;; [unrolled: 1-line block ×5, first 2 shown]
	v_mul_f64 v[16:17], v[16:17], s[16:17]
	v_add_f64 v[48:49], v[48:49], v[102:103]
	v_add_f64 v[2:3], v[2:3], v[12:13]
	v_mul_f64 v[100:101], v[52:53], s[4:5]
	v_mul_f64 v[102:103], v[52:53], s[8:9]
	v_add_f64 v[88:89], v[88:89], v[114:115]
	v_add_f64 v[90:91], v[90:91], v[112:113]
	;; [unrolled: 1-line block ×3, first 2 shown]
	v_mul_f64 v[14:15], v[52:53], s[14:15]
	v_mul_f64 v[34:35], v[52:53], s[16:17]
	v_add_f64 v[38:39], v[38:39], v[108:109]
	v_add_f64 v[42:43], v[42:43], v[46:47]
	;; [unrolled: 1-line block ×6, first 2 shown]
	v_mul_f64 v[52:53], v[52:53], s[6:7]
	v_add_f64 v[16:17], v[16:17], v[110:111]
	v_add_f64 v[2:3], v[48:49], v[2:3]
	v_mul_f64 v[48:49], v[150:151], s[8:9]
	v_mul_f64 v[54:55], v[150:151], s[6:7]
	v_add_f64 v[98:99], v[100:101], v[132:133]
	v_mul_f64 v[92:93], v[150:151], s[18:19]
	v_mul_f64 v[94:95], v[150:151], s[4:5]
	v_add_f64 v[100:101], v[102:103], v[118:119]
	v_add_f64 v[102:103], v[160:161], v[116:117]
	v_mul_f64 v[96:97], v[150:151], s[14:15]
	v_add_f64 v[12:13], v[26:27], v[12:13]
	v_mul_f64 v[26:27], v[150:151], s[16:17]
	v_add_f64 v[14:15], v[14:15], v[130:131]
	v_add_f64 v[34:35], v[34:35], v[126:127]
	;; [unrolled: 1-line block ×8, first 2 shown]
	v_mul_f64 v[50:51], v[152:153], s[16:17]
	v_add_f64 v[2:3], v[16:17], v[2:3]
	v_mul_f64 v[16:17], v[152:153], s[18:19]
	v_add_f64 v[48:49], v[48:49], v[124:125]
	v_add_f64 v[54:55], v[54:55], v[122:123]
	v_mul_f64 v[84:85], v[152:153], s[6:7]
	v_mul_f64 v[86:87], v[152:153], s[14:15]
	v_add_f64 v[90:91], v[92:93], v[120:121]
	v_add_f64 v[92:93], v[94:95], v[138:139]
	v_mul_f64 v[88:89], v[152:153], s[8:9]
	v_add_f64 v[94:95], v[96:97], v[136:137]
	v_add_f64 v[12:13], v[22:23], v[12:13]
	;; [unrolled: 3-line block ×3, first 2 shown]
	v_add_f64 v[34:35], v[34:35], v[42:43]
	v_add_f64 v[8:9], v[98:99], v[8:9]
	;; [unrolled: 1-line block ×26, first 2 shown]
	v_mul_u32_u24_e32 v10, 0x60, v73
	v_add3_u32 v10, v159, v10, v157
	ds_write2_b64 v10, v[40:41], v[36:37] offset0:8 offset1:9
	ds_write2_b64 v10, v[32:33], v[24:25] offset0:10 offset1:11
	ds_write2_b64 v10, v[14:15], v[8:9] offset0:2 offset1:3
	ds_write2_b64 v10, v[16:17], v[18:19] offset0:4 offset1:5
	ds_write2_b64 v10, v[2:3], v[20:21] offset0:6 offset1:7
	ds_write2_b64 v10, v[6:7], v[12:13] offset1:1
	ds_write_b64 v10, v[4:5] offset:96
.LBB0_19:
	s_or_b32 exec_lo, exec_lo, s20
	v_add_nc_u32_e32 v3, 0x400, v158
	v_add_nc_u32_e32 v10, 0xc00, v158
	;; [unrolled: 1-line block ×3, first 2 shown]
	s_waitcnt lgkmcnt(0)
	s_barrier
	buffer_gl0_inv
	ds_read_b64 v[18:19], v156
	ds_read2_b64 v[6:9], v3 offset0:15 offset1:158
	ds_read2_b64 v[14:17], v10 offset0:45 offset1:188
	;; [unrolled: 1-line block ×3, first 2 shown]
                                        ; implicit-def: $vgpr22_vgpr23
	s_and_saveexec_b32 s1, s0
	s_cbranch_execz .LBB0_21
; %bb.20:
	v_add_nc_u32_e32 v20, 0xa00, v158
	ds_read2_b64 v[2:5], v2 offset0:23 offset1:166
	ds_read2_b64 v[32:35], v158 offset0:91 offset1:234
	;; [unrolled: 1-line block ×3, first 2 shown]
	ds_read_b64 v[22:23], v158 offset:7592
	s_waitcnt lgkmcnt(3)
	v_mov_b32_e32 v25, v3
	s_waitcnt lgkmcnt(2)
	v_mov_b32_e32 v20, v32
	v_mov_b32_e32 v21, v33
	s_waitcnt lgkmcnt(1)
	v_mov_b32_e32 v32, v38
	v_mov_b32_e32 v41, v35
	v_mov_b32_e32 v24, v2
	v_mov_b32_e32 v33, v39
	v_mov_b32_e32 v40, v34
.LBB0_21:
	s_or_b32 exec_lo, exec_lo, s1
	v_and_b32_e32 v2, 0xff, v73
	v_mov_b32_e32 v3, 6
	s_mov_b32 s4, 0x37e14327
	s_mov_b32 s8, 0xe976ee23
	;; [unrolled: 1-line block ×3, first 2 shown]
	v_mul_lo_u16 v2, 0x4f, v2
	s_mov_b32 s9, 0xbfe11646
	s_mov_b32 s6, 0x429ad128
	;; [unrolled: 1-line block ×4, first 2 shown]
	v_lshrrev_b16 v125, 10, v2
	s_mov_b32 s15, 0x3fac98ee
	s_mov_b32 s16, 0xaaaaaaaa
	;; [unrolled: 1-line block ×4, first 2 shown]
	v_mul_lo_u16 v2, v125, 13
	s_mov_b32 s18, 0x5476071b
	s_mov_b32 s23, 0x3fd5d0dc
	s_mov_b32 s19, 0x3fe77f67
	s_mov_b32 s21, 0xbfe77f67
	v_sub_nc_u16 v126, v73, v2
	s_mov_b32 s25, 0xbfd5d0dc
	s_mov_b32 s20, s18
	;; [unrolled: 1-line block ×4, first 2 shown]
	v_mul_u32_u24_sdwa v2, v126, v3 dst_sel:DWORD dst_unused:UNUSED_PAD src0_sel:BYTE_0 src1_sel:DWORD
	s_mov_b32 s27, 0x3fdc38aa
	v_lshlrev_b32_e32 v2, 4, v2
	s_clause 0x5
	global_load_dwordx4 v[46:49], v2, s[12:13]
	global_load_dwordx4 v[42:45], v2, s[12:13] offset:16
	global_load_dwordx4 v[50:53], v2, s[12:13] offset:80
	;; [unrolled: 1-line block ×5, first 2 shown]
	v_add_nc_u16 v2, v73, 0x5b
	v_and_b32_e32 v26, 0xff, v2
	v_mul_lo_u16 v26, 0x4f, v26
	v_lshrrev_b16 v127, 10, v26
	v_mul_lo_u16 v26, v127, 13
	v_sub_nc_u16 v84, v2, v26
	v_mul_u32_u24_sdwa v2, v84, v3 dst_sel:DWORD dst_unused:UNUSED_PAD src0_sel:BYTE_0 src1_sel:DWORD
	v_lshlrev_b32_e32 v2, 4, v2
	s_clause 0x5
	global_load_dwordx4 v[97:100], v2, s[12:13]
	global_load_dwordx4 v[101:104], v2, s[12:13] offset:16
	global_load_dwordx4 v[105:108], v2, s[12:13] offset:32
	;; [unrolled: 1-line block ×5, first 2 shown]
	s_waitcnt vmcnt(0) lgkmcnt(0)
	s_barrier
	buffer_gl0_inv
	v_mul_f64 v[2:3], v[6:7], v[48:49]
	v_mul_f64 v[26:27], v[8:9], v[44:45]
	;; [unrolled: 1-line block ×12, first 2 shown]
	v_fma_f64 v[2:3], v[60:61], v[46:47], -v[2:3]
	v_fma_f64 v[34:35], v[62:63], v[42:43], -v[26:27]
	;; [unrolled: 1-line block ×4, first 2 shown]
	v_fma_f64 v[6:7], v[6:7], v[46:47], v[48:49]
	v_fma_f64 v[42:43], v[8:9], v[42:43], v[44:45]
	v_fma_f64 v[8:9], v[56:57], v[89:90], -v[121:122]
	v_fma_f64 v[14:15], v[14:15], v[89:90], v[91:92]
	v_fma_f64 v[44:45], v[10:11], v[85:86], v[87:88]
	v_fma_f64 v[10:11], v[58:59], v[93:94], -v[123:124]
	v_fma_f64 v[16:17], v[16:17], v[93:94], v[95:96]
	v_fma_f64 v[12:13], v[12:13], v[50:51], v[52:53]
	v_mul_f64 v[85:86], v[78:79], v[103:104]
	v_mul_f64 v[87:88], v[32:33], v[107:108]
	;; [unrolled: 1-line block ×4, first 2 shown]
	v_add_f64 v[46:47], v[2:3], v[26:27]
	v_add_f64 v[48:49], v[34:35], v[38:39]
	v_mul_f64 v[93:94], v[74:75], v[111:112]
	v_mul_f64 v[95:96], v[4:5], v[115:116]
	v_add_f64 v[50:51], v[42:43], -v[44:45]
	v_add_f64 v[52:53], v[8:9], v[10:11]
	v_add_f64 v[54:55], v[16:17], -v[14:15]
	v_add_f64 v[56:57], v[6:7], -v[12:13]
	v_add_f64 v[58:59], v[48:49], v[46:47]
	v_fma_f64 v[24:25], v[24:25], v[109:110], v[93:94]
	v_add_f64 v[60:61], v[46:47], -v[52:53]
	v_add_f64 v[62:63], v[54:55], -v[50:51]
	;; [unrolled: 1-line block ×3, first 2 shown]
	v_add_f64 v[50:51], v[54:55], v[50:51]
	v_add_f64 v[54:55], v[56:57], -v[54:55]
	v_add_f64 v[46:47], v[48:49], -v[46:47]
	v_add_f64 v[58:59], v[52:53], v[58:59]
	v_add_f64 v[52:53], v[52:53], -v[48:49]
	v_mul_f64 v[60:61], v[60:61], s[4:5]
	v_mul_f64 v[62:63], v[62:63], s[8:9]
	;; [unrolled: 1-line block ×3, first 2 shown]
	v_add_f64 v[50:51], v[50:51], v[56:57]
	v_add_f64 v[82:83], v[82:83], v[58:59]
	v_mul_f64 v[48:49], v[52:53], s[14:15]
	v_fma_f64 v[52:53], v[52:53], s[14:15], v[60:61]
	v_fma_f64 v[56:57], v[54:55], s[22:23], v[62:63]
	v_fma_f64 v[62:63], v[64:65], s[6:7], -v[62:63]
	v_fma_f64 v[54:55], v[54:55], s[24:25], -v[66:67]
	;; [unrolled: 1-line block ×3, first 2 shown]
	v_mul_f64 v[64:65], v[80:81], v[99:100]
	v_mul_f64 v[66:67], v[36:37], v[103:104]
	;; [unrolled: 1-line block ×4, first 2 shown]
	v_fma_f64 v[58:59], v[58:59], s[16:17], v[82:83]
	v_fma_f64 v[46:47], v[46:47], s[18:19], -v[48:49]
	v_mul_f64 v[48:49], v[40:41], v[99:100]
	v_mul_f64 v[99:100], v[30:31], v[115:116]
	v_fma_f64 v[30:31], v[30:31], v[113:114], -v[95:96]
	v_fma_f64 v[107:108], v[50:51], s[26:27], v[56:57]
	v_fma_f64 v[62:63], v[50:51], s[26:27], v[62:63]
	;; [unrolled: 1-line block ×4, first 2 shown]
	v_fma_f64 v[36:37], v[76:77], v[105:106], -v[87:88]
	v_fma_f64 v[54:55], v[0:1], v[117:118], -v[103:104]
	v_fma_f64 v[22:23], v[22:23], v[117:118], v[119:120]
	v_and_b32_e32 v1, 0xffff, v125
	v_mov_b32_e32 v0, 3
	v_mad_u32_u24 v1, 0x2d8, v1, 0
	v_add_f64 v[115:116], v[52:53], v[58:59]
	v_add_f64 v[60:61], v[60:61], v[58:59]
	;; [unrolled: 1-line block ×3, first 2 shown]
	v_fma_f64 v[46:47], v[80:81], v[97:98], -v[48:49]
	v_fma_f64 v[48:49], v[40:41], v[97:98], v[64:65]
	v_fma_f64 v[40:41], v[78:79], v[101:102], -v[66:67]
	v_fma_f64 v[52:53], v[32:33], v[105:106], v[89:90]
	;; [unrolled: 2-line block ×3, first 2 shown]
	v_add_f64 v[4:5], v[107:108], v[115:116]
	v_add_f64 v[64:65], v[111:112], v[60:61]
	v_add_f64 v[66:67], v[58:59], -v[62:63]
	v_add_f64 v[62:63], v[62:63], v[58:59]
	v_add_f64 v[60:61], v[60:61], -v[111:112]
	v_add_f64 v[74:75], v[115:116], -v[107:108]
	v_lshlrev_b32_sdwa v58, v0, v126 dst_sel:DWORD dst_unused:UNUSED_PAD src0_sel:DWORD src1_sel:BYTE_0
	v_add3_u32 v59, v1, v58, v157
	v_and_b32_e32 v58, 0xffff, v127
	ds_write2_b64 v59, v[82:83], v[4:5] offset1:13
	ds_write2_b64 v59, v[64:65], v[66:67] offset0:26 offset1:39
	ds_write2_b64 v59, v[62:63], v[60:61] offset0:52 offset1:65
	ds_write_b64 v59, v[74:75] offset:624
	s_and_saveexec_b32 s1, s0
	s_cbranch_execz .LBB0_23
; %bb.22:
	v_add_f64 v[4:5], v[40:41], v[30:31]
	v_add_f64 v[60:61], v[46:47], v[54:55]
	v_add_f64 v[62:63], v[24:25], -v[52:53]
	v_add_f64 v[64:65], v[50:51], -v[56:57]
	v_add_f64 v[66:67], v[36:37], v[32:33]
	v_add_f64 v[74:75], v[48:49], -v[22:23]
	v_mad_u32_u24 v1, 0x2d8, v58, 0
	v_lshlrev_b32_sdwa v0, v0, v84 dst_sel:DWORD dst_unused:UNUSED_PAD src0_sel:DWORD src1_sel:BYTE_0
	v_add3_u32 v0, v1, v0, v157
	v_add_f64 v[76:77], v[4:5], v[60:61]
	v_add_f64 v[78:79], v[62:63], -v[64:65]
	v_add_f64 v[80:81], v[60:61], -v[66:67]
	v_add_f64 v[82:83], v[64:65], -v[74:75]
	v_add_f64 v[64:65], v[62:63], v[64:65]
	v_add_f64 v[62:63], v[74:75], -v[62:63]
	v_add_f64 v[76:77], v[66:67], v[76:77]
	v_add_f64 v[66:67], v[66:67], -v[4:5]
	v_add_f64 v[4:5], v[4:5], -v[60:61]
	v_mul_f64 v[60:61], v[78:79], s[8:9]
	v_mul_f64 v[78:79], v[80:81], s[4:5]
	;; [unrolled: 1-line block ×3, first 2 shown]
	v_add_f64 v[64:65], v[64:65], v[74:75]
	v_add_f64 v[28:29], v[28:29], v[76:77]
	v_mul_f64 v[85:86], v[66:67], s[14:15]
	v_fma_f64 v[74:75], v[62:63], s[22:23], v[60:61]
	v_fma_f64 v[66:67], v[66:67], s[14:15], v[78:79]
	v_fma_f64 v[87:88], v[4:5], s[20:21], -v[78:79]
	v_fma_f64 v[62:63], v[62:63], s[24:25], -v[80:81]
	;; [unrolled: 1-line block ×3, first 2 shown]
	v_fma_f64 v[76:77], v[76:77], s[16:17], v[28:29]
	v_fma_f64 v[4:5], v[4:5], s[18:19], -v[85:86]
	v_fma_f64 v[74:75], v[64:65], s[26:27], v[74:75]
	v_fma_f64 v[62:63], v[64:65], s[26:27], v[62:63]
	;; [unrolled: 1-line block ×3, first 2 shown]
	v_add_f64 v[66:67], v[66:67], v[76:77]
	v_add_f64 v[64:65], v[87:88], v[76:77]
	v_add_f64 v[4:5], v[4:5], v[76:77]
	v_add_f64 v[80:81], v[74:75], v[66:67]
	v_add_f64 v[76:77], v[64:65], -v[62:63]
	v_add_f64 v[78:79], v[4:5], -v[60:61]
	v_add_f64 v[62:63], v[62:63], v[64:65]
	v_add_f64 v[4:5], v[60:61], v[4:5]
	v_add_f64 v[60:61], v[66:67], -v[74:75]
	ds_write2_b64 v0, v[28:29], v[80:81] offset1:13
	ds_write2_b64 v0, v[62:63], v[78:79] offset0:26 offset1:39
	ds_write2_b64 v0, v[4:5], v[76:77] offset0:52 offset1:65
	ds_write_b64 v0, v[60:61] offset:624
.LBB0_23:
	s_or_b32 exec_lo, exec_lo, s1
	v_add_f64 v[0:1], v[6:7], v[12:13]
	v_add_f64 v[4:5], v[42:43], v[44:45]
	v_add_f64 v[6:7], v[34:35], -v[38:39]
	v_add_f64 v[12:13], v[14:15], v[16:17]
	v_add_f64 v[8:9], v[10:11], -v[8:9]
	v_add_f64 v[2:3], v[2:3], -v[26:27]
	v_add_nc_u32_e32 v62, 0xc00, v158
	v_add_nc_u32_e32 v63, 0x1000, v158
	;; [unrolled: 1-line block ×3, first 2 shown]
	s_waitcnt lgkmcnt(0)
	s_barrier
	buffer_gl0_inv
	ds_read_b64 v[64:65], v156
	v_add_f64 v[10:11], v[4:5], v[0:1]
	v_add_f64 v[14:15], v[0:1], -v[12:13]
	v_add_f64 v[16:17], v[8:9], -v[6:7]
	v_add_f64 v[26:27], v[6:7], -v[2:3]
	v_add_f64 v[6:7], v[8:9], v[6:7]
	v_add_f64 v[8:9], v[2:3], -v[8:9]
	v_add_f64 v[0:1], v[4:5], -v[0:1]
	v_add_f64 v[10:11], v[12:13], v[10:11]
	v_add_f64 v[12:13], v[12:13], -v[4:5]
	v_mul_f64 v[14:15], v[14:15], s[4:5]
	v_mul_f64 v[16:17], v[16:17], s[8:9]
	;; [unrolled: 1-line block ×3, first 2 shown]
	v_add_f64 v[2:3], v[6:7], v[2:3]
	v_add_f64 v[34:35], v[18:19], v[10:11]
	v_mul_f64 v[4:5], v[12:13], s[14:15]
	v_fma_f64 v[6:7], v[12:13], s[14:15], v[14:15]
	v_fma_f64 v[12:13], v[8:9], s[22:23], v[16:17]
	v_fma_f64 v[16:17], v[26:27], s[6:7], -v[16:17]
	v_fma_f64 v[8:9], v[8:9], s[24:25], -v[28:29]
	;; [unrolled: 1-line block ×3, first 2 shown]
	v_fma_f64 v[10:11], v[10:11], s[16:17], v[34:35]
	v_fma_f64 v[0:1], v[0:1], s[18:19], -v[4:5]
	v_add_nc_u32_e32 v4, 0x800, v158
	v_fma_f64 v[12:13], v[2:3], s[26:27], v[12:13]
	v_fma_f64 v[16:17], v[2:3], s[26:27], v[16:17]
	;; [unrolled: 1-line block ×3, first 2 shown]
	v_add_f64 v[18:19], v[6:7], v[10:11]
	v_add_f64 v[14:15], v[14:15], v[10:11]
	;; [unrolled: 1-line block ×3, first 2 shown]
	ds_read2_b64 v[0:3], v158 offset0:91 offset1:182
	ds_read2_b64 v[4:7], v4 offset0:17 offset1:108
	v_add_f64 v[26:27], v[18:19], -v[12:13]
	v_add_f64 v[28:29], v[14:15], -v[8:9]
	v_add_f64 v[38:39], v[16:17], v[10:11]
	v_add_f64 v[42:43], v[10:11], -v[16:17]
	v_add_f64 v[44:45], v[8:9], v[14:15]
	v_add_f64 v[60:61], v[12:13], v[18:19]
	ds_read2_b64 v[16:19], v62 offset0:71 offset1:162
	ds_read2_b64 v[12:15], v63 offset0:125 offset1:216
	;; [unrolled: 1-line block ×3, first 2 shown]
	s_waitcnt lgkmcnt(0)
	s_barrier
	buffer_gl0_inv
	ds_write2_b64 v59, v[34:35], v[26:27] offset1:13
	ds_write2_b64 v59, v[28:29], v[38:39] offset0:26 offset1:39
	ds_write2_b64 v59, v[42:43], v[44:45] offset0:52 offset1:65
	ds_write_b64 v59, v[60:61] offset:624
	s_and_saveexec_b32 s1, s0
	s_cbranch_execz .LBB0_25
; %bb.24:
	v_add_f64 v[22:23], v[48:49], v[22:23]
	v_add_f64 v[26:27], v[50:51], v[56:57]
	;; [unrolled: 1-line block ×3, first 2 shown]
	v_add_f64 v[28:29], v[40:41], -v[30:31]
	v_add_f64 v[30:31], v[32:33], -v[36:37]
	;; [unrolled: 1-line block ×3, first 2 shown]
	s_mov_b32 s6, 0x36b3c0b5
	s_mov_b32 s7, 0x3fac98ee
	;; [unrolled: 1-line block ×6, first 2 shown]
	v_add_f64 v[34:35], v[26:27], v[22:23]
	v_add_f64 v[36:37], v[22:23], -v[24:25]
	v_add_f64 v[38:39], v[24:25], -v[26:27]
	;; [unrolled: 1-line block ×5, first 2 shown]
	v_add_f64 v[26:27], v[30:31], v[28:29]
	v_add_f64 v[28:29], v[32:33], -v[30:31]
	v_add_f64 v[24:25], v[24:25], v[34:35]
	v_mul_f64 v[30:31], v[36:37], s[4:5]
	s_mov_b32 s4, 0x429ad128
	v_mul_f64 v[36:37], v[40:41], s[8:9]
	s_mov_b32 s5, 0x3febfeb5
	v_mul_f64 v[34:35], v[38:39], s[6:7]
	v_mul_f64 v[40:41], v[42:43], s[4:5]
	s_mov_b32 s8, 0xaaaaaaaa
	s_mov_b32 s9, 0xbff2aaaa
	v_add_f64 v[26:27], v[26:27], v[32:33]
	v_add_f64 v[20:21], v[20:21], v[24:25]
	v_fma_f64 v[32:33], v[38:39], s[6:7], v[30:31]
	v_fma_f64 v[38:39], v[28:29], s[16:17], v[36:37]
	s_mov_b32 s17, 0xbfd5d0dc
	v_fma_f64 v[34:35], v[22:23], s[14:15], -v[34:35]
	s_mov_b32 s15, 0xbfe77f67
	v_fma_f64 v[36:37], v[42:43], s[4:5], -v[36:37]
	v_fma_f64 v[28:29], v[28:29], s[16:17], -v[40:41]
	v_fma_f64 v[22:23], v[22:23], s[14:15], -v[30:31]
	s_mov_b32 s4, 0x37c3f68c
	s_mov_b32 s5, 0x3fdc38aa
	v_fma_f64 v[24:25], v[24:25], s[8:9], v[20:21]
	v_fma_f64 v[30:31], v[26:27], s[4:5], v[38:39]
	;; [unrolled: 1-line block ×4, first 2 shown]
	v_add_f64 v[28:29], v[32:33], v[24:25]
	v_add_f64 v[22:23], v[22:23], v[24:25]
	v_add_f64 v[24:25], v[34:35], v[24:25]
	v_add_f64 v[32:33], v[28:29], -v[30:31]
	v_add_f64 v[34:35], v[22:23], -v[26:27]
	v_add_f64 v[38:39], v[36:37], v[24:25]
	v_add_f64 v[24:25], v[24:25], -v[36:37]
	v_add_f64 v[22:23], v[26:27], v[22:23]
	v_add_f64 v[26:27], v[30:31], v[28:29]
	v_mov_b32_e32 v28, 3
	v_mad_u32_u24 v29, 0x2d8, v58, 0
	v_lshlrev_b32_sdwa v28, v28, v84 dst_sel:DWORD dst_unused:UNUSED_PAD src0_sel:DWORD src1_sel:BYTE_0
	v_add3_u32 v28, v29, v28, v157
	ds_write2_b64 v28, v[20:21], v[32:33] offset1:13
	ds_write2_b64 v28, v[34:35], v[38:39] offset0:26 offset1:39
	ds_write2_b64 v28, v[24:25], v[22:23] offset0:52 offset1:65
	ds_write_b64 v28, v[26:27] offset:624
.LBB0_25:
	s_or_b32 exec_lo, exec_lo, s1
	s_waitcnt lgkmcnt(0)
	s_barrier
	buffer_gl0_inv
	s_and_saveexec_b32 s0, vcc_lo
	s_cbranch_execz .LBB0_27
; %bb.26:
	v_mul_u32_u24_e32 v20, 10, v73
	v_mul_lo_u32 v76, s3, v71
	v_mul_lo_u32 v77, s2, v72
	v_mad_u64_u32 v[66:67], null, s2, v71, 0
	v_lshlrev_b32_e32 v52, 4, v20
	v_add_nc_u32_e32 v72, 0xc00, v158
	v_add_nc_u32_e32 v73, 0x800, v158
	;; [unrolled: 1-line block ×3, first 2 shown]
	v_mov_b32_e32 v71, 0
	s_clause 0x9
	global_load_dwordx4 v[24:27], v52, s[12:13] offset:1312
	global_load_dwordx4 v[20:23], v52, s[12:13] offset:1328
	;; [unrolled: 1-line block ×10, first 2 shown]
	v_add3_u32 v67, v67, v77, v76
	ds_read2_b64 v[60:63], v158 offset0:91 offset1:182
	v_lshlrev_b64 v[88:89], 4, v[68:69]
	ds_read_b64 v[68:69], v156
	ds_read2_b64 v[76:79], v72 offset0:71 offset1:162
	ds_read2_b64 v[80:83], v73 offset0:17 offset1:108
	;; [unrolled: 1-line block ×3, first 2 shown]
	v_lshlrev_b64 v[66:67], 4, v[66:67]
	v_add_nc_u32_e32 v75, 0x1800, v158
	s_mov_b32 s0, 0x640f44db
	s_mov_b32 s2, 0xd9c712b6
	;; [unrolled: 1-line block ×4, first 2 shown]
	v_add_co_u32 v72, vcc_lo, s10, v66
	v_add_co_ci_u32_e32 v73, vcc_lo, s11, v67, vcc_lo
	v_lshlrev_b64 v[66:67], 4, v[70:71]
	v_add_co_u32 v74, vcc_lo, v72, v88
	v_add_co_ci_u32_e32 v88, vcc_lo, v73, v89, vcc_lo
	ds_read2_b64 v[70:73], v75 offset0:51 offset1:142
	v_add_co_u32 v66, vcc_lo, v74, v66
	v_add_co_ci_u32_e32 v67, vcc_lo, v88, v67, vcc_lo
	s_mov_b32 s16, 0x9bcd5057
	s_mov_b32 s1, 0xbfc2375f
	;; [unrolled: 1-line block ×26, first 2 shown]
	v_add_co_u32 v106, vcc_lo, 0x800, v66
	v_add_co_ci_u32_e32 v107, vcc_lo, 0, v67, vcc_lo
	s_waitcnt vmcnt(9)
	v_mul_f64 v[74:75], v[16:17], v[26:27]
	s_waitcnt vmcnt(8)
	v_mul_f64 v[88:89], v[18:19], v[22:23]
	;; [unrolled: 2-line block ×10, first 2 shown]
	s_waitcnt lgkmcnt(5)
	v_mul_f64 v[50:51], v[60:61], v[50:51]
	s_waitcnt lgkmcnt(3)
	v_mul_f64 v[26:27], v[76:77], v[26:27]
	v_mul_f64 v[22:23], v[78:79], v[22:23]
	s_waitcnt lgkmcnt(2)
	v_mul_f64 v[34:35], v[82:83], v[34:35]
	s_waitcnt lgkmcnt(1)
	v_mul_f64 v[30:31], v[84:85], v[30:31]
	v_mul_f64 v[42:43], v[80:81], v[42:43]
	v_mul_f64 v[38:39], v[86:87], v[38:39]
	v_mul_f64 v[46:47], v[62:63], v[46:47]
	s_waitcnt lgkmcnt(0)
	v_mul_f64 v[58:59], v[70:71], v[58:59]
	v_mul_f64 v[54:55], v[72:73], v[54:55]
	v_fma_f64 v[74:75], v[76:77], v[24:25], v[74:75]
	v_fma_f64 v[76:77], v[78:79], v[20:21], v[88:89]
	v_fma_f64 v[78:79], v[82:83], v[32:33], v[90:91]
	v_fma_f64 v[82:83], v[84:85], v[28:29], v[92:93]
	v_fma_f64 v[80:81], v[80:81], v[40:41], v[94:95]
	v_fma_f64 v[84:85], v[86:87], v[36:37], v[96:97]
	v_fma_f64 v[62:63], v[62:63], v[44:45], v[98:99]
	v_fma_f64 v[70:71], v[70:71], v[56:57], v[100:101]
	v_fma_f64 v[60:61], v[60:61], v[48:49], v[102:103]
	v_fma_f64 v[72:73], v[72:73], v[52:53], v[104:105]
	v_fma_f64 v[0:1], v[0:1], v[48:49], -v[50:51]
	v_fma_f64 v[16:17], v[16:17], v[24:25], -v[26:27]
	;; [unrolled: 1-line block ×10, first 2 shown]
	v_add_co_u32 v44, vcc_lo, 0x1000, v66
	v_add_co_ci_u32_e32 v45, vcc_lo, 0, v67, vcc_lo
	v_add_f64 v[10:11], v[74:75], v[76:77]
	v_add_f64 v[20:21], v[78:79], v[82:83]
	v_add_f64 v[28:29], v[74:75], -v[76:77]
	v_add_f64 v[22:23], v[80:81], v[84:85]
	v_add_f64 v[30:31], v[78:79], -v[82:83]
	v_add_f64 v[24:25], v[62:63], v[70:71]
	v_add_f64 v[58:59], v[68:69], v[60:61]
	;; [unrolled: 1-line block ×4, first 2 shown]
	v_add_f64 v[60:61], v[60:61], -v[72:73]
	v_add_f64 v[32:33], v[16:17], -v[18:19]
	;; [unrolled: 1-line block ×6, first 2 shown]
	v_add_f64 v[50:51], v[16:17], v[18:19]
	v_add_f64 v[38:39], v[2:3], -v[8:9]
	v_add_f64 v[42:43], v[0:1], -v[40:41]
	v_add_f64 v[90:91], v[2:3], v[8:9]
	v_add_f64 v[0:1], v[0:1], v[40:41]
	;; [unrolled: 1-line block ×4, first 2 shown]
	v_mul_f64 v[92:93], v[10:11], s[0:1]
	v_mul_f64 v[94:95], v[20:21], s[2:3]
	;; [unrolled: 1-line block ×25, first 2 shown]
	v_add_f64 v[58:59], v[62:63], v[58:59]
	v_add_f64 v[2:3], v[2:3], v[86:87]
	v_fma_f64 v[170:171], v[32:33], s[8:9], v[92:93]
	v_fma_f64 v[172:173], v[34:35], s[12:13], v[94:95]
	;; [unrolled: 1-line block ×50, first 2 shown]
	v_add_f64 v[42:43], v[80:81], v[58:59]
	v_add_f64 v[2:3], v[4:5], v[2:3]
	v_mul_f64 v[162:163], v[60:61], s[30:31]
	v_mul_f64 v[164:165], v[60:61], s[26:27]
	;; [unrolled: 1-line block ×20, first 2 shown]
	v_add_f64 v[42:43], v[78:79], v[42:43]
	v_add_f64 v[2:3], v[6:7], v[2:3]
	v_mul_f64 v[62:63], v[88:89], s[28:29]
	v_mul_f64 v[86:87], v[88:89], s[8:9]
	;; [unrolled: 1-line block ×5, first 2 shown]
	v_fma_f64 v[238:239], v[0:1], s[6:7], -v[60:61]
	v_fma_f64 v[180:181], v[50:51], s[0:1], v[102:103]
	v_fma_f64 v[182:183], v[52:53], s[2:3], v[104:105]
	v_fma_f64 v[102:103], v[50:51], s[0:1], -v[102:103]
	v_fma_f64 v[104:105], v[52:53], s[2:3], -v[104:105]
	v_fma_f64 v[194:195], v[50:51], s[2:3], v[118:119]
	v_fma_f64 v[118:119], v[50:51], s[2:3], -v[118:119]
	v_fma_f64 v[206:207], v[50:51], s[4:5], v[132:133]
	;; [unrolled: 2-line block ×15, first 2 shown]
	v_fma_f64 v[164:165], v[0:1], s[4:5], -v[164:165]
	v_fma_f64 v[240:241], v[0:1], s[2:3], -v[168:169]
	;; [unrolled: 1-line block ×3, first 2 shown]
	v_fma_f64 v[166:167], v[0:1], s[0:1], v[166:167]
	v_fma_f64 v[168:169], v[0:1], s[2:3], v[168:169]
	v_add_f64 v[42:43], v[74:75], v[42:43]
	v_add_f64 v[2:3], v[16:17], v[2:3]
	v_fma_f64 v[0:1], v[0:1], s[6:7], v[60:61]
	v_fma_f64 v[244:245], v[90:91], s[2:3], v[88:89]
	v_fma_f64 v[88:89], v[90:91], s[2:3], -v[88:89]
	v_add_f64 v[16:17], v[68:69], v[178:179]
	v_add_f64 v[26:27], v[68:69], v[26:27]
	;; [unrolled: 1-line block ×3, first 2 shown]
	v_fma_f64 v[6:7], v[90:91], s[6:7], v[62:63]
	v_fma_f64 v[62:63], v[90:91], s[6:7], -v[62:63]
	v_fma_f64 v[162:163], v[90:91], s[0:1], v[86:87]
	v_fma_f64 v[86:87], v[90:91], s[0:1], -v[86:87]
	;; [unrolled: 2-line block ×4, first 2 shown]
	v_add_f64 v[56:57], v[64:65], v[56:57]
	v_add_f64 v[60:61], v[68:69], v[100:101]
	;; [unrolled: 1-line block ×101, first 2 shown]
	v_add_co_u32 v46, vcc_lo, 0x1800, v66
	v_add_f64 v[34:35], v[208:209], v[68:69]
	v_add_f64 v[32:33], v[218:219], v[74:75]
	;; [unrolled: 1-line block ×4, first 2 shown]
	v_add_co_ci_u32_e32 v47, vcc_lo, 0, v67, vcc_lo
	v_add_f64 v[38:39], v[220:221], v[76:77]
	v_add_f64 v[36:37], v[58:59], v[78:79]
	v_add_co_u32 v48, vcc_lo, 0x2000, v66
	v_add_co_ci_u32_e32 v49, vcc_lo, 0, v67, vcc_lo
	v_add_co_u32 v50, vcc_lo, 0x2800, v66
	v_add_co_ci_u32_e32 v51, vcc_lo, 0, v67, vcc_lo
	;; [unrolled: 2-line block ×4, first 2 shown]
	global_store_dwordx4 v[66:67], v[28:31], off offset:1456
	global_store_dwordx4 v[106:107], v[24:27], off offset:864
	;; [unrolled: 1-line block ×9, first 2 shown]
	global_store_dwordx4 v[66:67], v[40:43], off
	global_store_dwordx4 v[54:55], v[36:39], off offset:224
.LBB0_27:
	s_endpgm
	.section	.rodata,"a",@progbits
	.p2align	6, 0x0
	.amdhsa_kernel fft_rtc_fwd_len1001_factors_13_7_11_wgs_182_tpt_91_halfLds_dp_op_CI_CI_unitstride_sbrr_dirReg
		.amdhsa_group_segment_fixed_size 0
		.amdhsa_private_segment_fixed_size 0
		.amdhsa_kernarg_size 104
		.amdhsa_user_sgpr_count 6
		.amdhsa_user_sgpr_private_segment_buffer 1
		.amdhsa_user_sgpr_dispatch_ptr 0
		.amdhsa_user_sgpr_queue_ptr 0
		.amdhsa_user_sgpr_kernarg_segment_ptr 1
		.amdhsa_user_sgpr_dispatch_id 0
		.amdhsa_user_sgpr_flat_scratch_init 0
		.amdhsa_user_sgpr_private_segment_size 0
		.amdhsa_wavefront_size32 1
		.amdhsa_uses_dynamic_stack 0
		.amdhsa_system_sgpr_private_segment_wavefront_offset 0
		.amdhsa_system_sgpr_workgroup_id_x 1
		.amdhsa_system_sgpr_workgroup_id_y 0
		.amdhsa_system_sgpr_workgroup_id_z 0
		.amdhsa_system_sgpr_workgroup_info 0
		.amdhsa_system_vgpr_workitem_id 0
		.amdhsa_next_free_vgpr 246
		.amdhsa_next_free_sgpr 44
		.amdhsa_reserve_vcc 1
		.amdhsa_reserve_flat_scratch 0
		.amdhsa_float_round_mode_32 0
		.amdhsa_float_round_mode_16_64 0
		.amdhsa_float_denorm_mode_32 3
		.amdhsa_float_denorm_mode_16_64 3
		.amdhsa_dx10_clamp 1
		.amdhsa_ieee_mode 1
		.amdhsa_fp16_overflow 0
		.amdhsa_workgroup_processor_mode 1
		.amdhsa_memory_ordered 1
		.amdhsa_forward_progress 0
		.amdhsa_shared_vgpr_count 0
		.amdhsa_exception_fp_ieee_invalid_op 0
		.amdhsa_exception_fp_denorm_src 0
		.amdhsa_exception_fp_ieee_div_zero 0
		.amdhsa_exception_fp_ieee_overflow 0
		.amdhsa_exception_fp_ieee_underflow 0
		.amdhsa_exception_fp_ieee_inexact 0
		.amdhsa_exception_int_div_zero 0
	.end_amdhsa_kernel
	.text
.Lfunc_end0:
	.size	fft_rtc_fwd_len1001_factors_13_7_11_wgs_182_tpt_91_halfLds_dp_op_CI_CI_unitstride_sbrr_dirReg, .Lfunc_end0-fft_rtc_fwd_len1001_factors_13_7_11_wgs_182_tpt_91_halfLds_dp_op_CI_CI_unitstride_sbrr_dirReg
                                        ; -- End function
	.section	.AMDGPU.csdata,"",@progbits
; Kernel info:
; codeLenInByte = 12524
; NumSgprs: 46
; NumVgprs: 246
; ScratchSize: 0
; MemoryBound: 1
; FloatMode: 240
; IeeeMode: 1
; LDSByteSize: 0 bytes/workgroup (compile time only)
; SGPRBlocks: 5
; VGPRBlocks: 30
; NumSGPRsForWavesPerEU: 46
; NumVGPRsForWavesPerEU: 246
; Occupancy: 4
; WaveLimiterHint : 1
; COMPUTE_PGM_RSRC2:SCRATCH_EN: 0
; COMPUTE_PGM_RSRC2:USER_SGPR: 6
; COMPUTE_PGM_RSRC2:TRAP_HANDLER: 0
; COMPUTE_PGM_RSRC2:TGID_X_EN: 1
; COMPUTE_PGM_RSRC2:TGID_Y_EN: 0
; COMPUTE_PGM_RSRC2:TGID_Z_EN: 0
; COMPUTE_PGM_RSRC2:TIDIG_COMP_CNT: 0
	.text
	.p2alignl 6, 3214868480
	.fill 48, 4, 3214868480
	.type	__hip_cuid_b0eb9a744ebb9f9c,@object ; @__hip_cuid_b0eb9a744ebb9f9c
	.section	.bss,"aw",@nobits
	.globl	__hip_cuid_b0eb9a744ebb9f9c
__hip_cuid_b0eb9a744ebb9f9c:
	.byte	0                               ; 0x0
	.size	__hip_cuid_b0eb9a744ebb9f9c, 1

	.ident	"AMD clang version 19.0.0git (https://github.com/RadeonOpenCompute/llvm-project roc-6.4.0 25133 c7fe45cf4b819c5991fe208aaa96edf142730f1d)"
	.section	".note.GNU-stack","",@progbits
	.addrsig
	.addrsig_sym __hip_cuid_b0eb9a744ebb9f9c
	.amdgpu_metadata
---
amdhsa.kernels:
  - .args:
      - .actual_access:  read_only
        .address_space:  global
        .offset:         0
        .size:           8
        .value_kind:     global_buffer
      - .offset:         8
        .size:           8
        .value_kind:     by_value
      - .actual_access:  read_only
        .address_space:  global
        .offset:         16
        .size:           8
        .value_kind:     global_buffer
      - .actual_access:  read_only
        .address_space:  global
        .offset:         24
        .size:           8
        .value_kind:     global_buffer
      - .actual_access:  read_only
        .address_space:  global
        .offset:         32
        .size:           8
        .value_kind:     global_buffer
      - .offset:         40
        .size:           8
        .value_kind:     by_value
      - .actual_access:  read_only
        .address_space:  global
        .offset:         48
        .size:           8
        .value_kind:     global_buffer
      - .actual_access:  read_only
        .address_space:  global
        .offset:         56
        .size:           8
        .value_kind:     global_buffer
      - .offset:         64
        .size:           4
        .value_kind:     by_value
      - .actual_access:  read_only
        .address_space:  global
        .offset:         72
        .size:           8
        .value_kind:     global_buffer
      - .actual_access:  read_only
        .address_space:  global
        .offset:         80
        .size:           8
        .value_kind:     global_buffer
      - .actual_access:  read_only
        .address_space:  global
        .offset:         88
        .size:           8
        .value_kind:     global_buffer
      - .actual_access:  write_only
        .address_space:  global
        .offset:         96
        .size:           8
        .value_kind:     global_buffer
    .group_segment_fixed_size: 0
    .kernarg_segment_align: 8
    .kernarg_segment_size: 104
    .language:       OpenCL C
    .language_version:
      - 2
      - 0
    .max_flat_workgroup_size: 182
    .name:           fft_rtc_fwd_len1001_factors_13_7_11_wgs_182_tpt_91_halfLds_dp_op_CI_CI_unitstride_sbrr_dirReg
    .private_segment_fixed_size: 0
    .sgpr_count:     46
    .sgpr_spill_count: 0
    .symbol:         fft_rtc_fwd_len1001_factors_13_7_11_wgs_182_tpt_91_halfLds_dp_op_CI_CI_unitstride_sbrr_dirReg.kd
    .uniform_work_group_size: 1
    .uses_dynamic_stack: false
    .vgpr_count:     246
    .vgpr_spill_count: 0
    .wavefront_size: 32
    .workgroup_processor_mode: 1
amdhsa.target:   amdgcn-amd-amdhsa--gfx1030
amdhsa.version:
  - 1
  - 2
...

	.end_amdgpu_metadata
